;; amdgpu-corpus repo=ggml-org/llama.cpp kind=compiled arch=gfx1250 opt=O3
	.amdgcn_target "amdgcn-amd-amdhsa--gfx1250"
	.amdhsa_code_object_version 6
	.section	.text._ZL22timestep_embedding_f32PKfPfiii,"axG",@progbits,_ZL22timestep_embedding_f32PKfPfiii,comdat
	.globl	_ZL22timestep_embedding_f32PKfPfiii ; -- Begin function _ZL22timestep_embedding_f32PKfPfiii
	.p2align	8
	.type	_ZL22timestep_embedding_f32PKfPfiii,@function
_ZL22timestep_embedding_f32PKfPfiii:    ; @_ZL22timestep_embedding_f32PKfPfiii
; %bb.0:
	s_clause 0x2
	s_load_b32 s2, s[0:1], 0x2c
	s_load_b128 s[4:7], s[0:1], 0x0
	s_load_b96 s[8:10], s[0:1], 0x10
	s_bfe_u32 s11, ttmp6, 0x4000c
	s_wait_xcnt 0x0
	s_bfe_u32 s0, ttmp6, 0x40010
	s_add_co_i32 s11, s11, 1
	s_add_co_i32 s0, s0, 1
	s_and_b32 s3, ttmp6, 15
	s_bfe_u32 s1, ttmp6, 0x40004
	s_mul_i32 s11, ttmp9, s11
	s_mul_i32 s0, ttmp7, s0
	s_getreg_b32 s12, hwreg(HW_REG_IB_STS2, 6, 4)
	s_add_co_i32 s3, s3, s11
	s_add_co_i32 s1, s1, s0
	s_wait_kmcnt 0x0
	s_and_b32 s2, s2, 0xffff
	s_cmp_eq_u32 s12, 0
	s_cselect_b32 s0, ttmp9, s3
	s_delay_alu instid0(SALU_CYCLE_1)
	v_mad_u32 v0, s0, s2, v0
	s_cselect_b32 s0, ttmp7, s1
	s_lshr_b32 s1, s9, 31
	s_mul_i32 s2, s8, s0
	s_add_co_i32 s1, s9, s1
	s_ashr_i32 s3, s2, 31
	s_ashr_i32 s8, s1, 1
	s_bitcmp1_b32 s9, 0
	s_add_nc_u64 s[6:7], s[6:7], s[2:3]
	s_cselect_b32 s1, -1, 0
	s_delay_alu instid0(VALU_DEP_1) | instskip(SKIP_1) | instid1(SALU_CYCLE_1)
	v_cmp_eq_u32_e32 vcc_lo, s8, v0
	s_and_b32 s2, s1, vcc_lo
	s_and_saveexec_b32 s1, s2
	s_cbranch_execnz .LBB0_3
; %bb.1:
	s_or_b32 exec_lo, exec_lo, s1
	s_delay_alu instid0(SALU_CYCLE_1)
	s_mov_b32 s1, exec_lo
	v_cmpx_gt_i32_e64 s8, v0
	s_cbranch_execnz .LBB0_4
.LBB0_2:
	s_endpgm
.LBB0_3:
	v_dual_mov_b32 v2, 0 :: v_dual_lshlrev_b32 v1, 1, v0
	global_store_b32 v1, v2, s[6:7] scale_offset
	s_wait_xcnt 0x0
	s_or_b32 exec_lo, exec_lo, s1
	s_delay_alu instid0(SALU_CYCLE_1)
	s_mov_b32 s1, exec_lo
	v_cmpx_gt_i32_e64 s8, v0
	s_cbranch_execz .LBB0_2
.LBB0_4:
	v_cvt_f32_i32_e32 v2, v0
	v_mov_b32_e32 v1, s0
	s_cvt_f32_i32 s0, s10
	s_delay_alu instid0(SALU_CYCLE_3) | instskip(SKIP_3) | instid1(SALU_CYCLE_3)
	s_cmp_lt_f32 s0, 0x800000
	s_cselect_b32 s1, 0x4f800000, 1.0
	s_cselect_b32 s2, 0x41b17218, 0
	s_mul_f32 s0, s0, s1
	v_s_log_f32 s0, s0
	s_delay_alu instid0(TRANS32_DEP_1) | instskip(SKIP_1) | instid1(SALU_CYCLE_2)
	s_mul_f32 s1, s0, 0x3f317217
	s_and_b32 s3, s0, 0x7fffffff
	s_xor_b32 s1, s1, 0x80000000
	s_cmp_lt_f32 s3, 0x7f800000
	s_fmamk_f32 s1, s0, 0x3f317217, s1
	s_delay_alu instid0(SALU_CYCLE_3) | instskip(NEXT) | instid1(SALU_CYCLE_3)
	s_fmamk_f32 s1, s0, 0x3377d1cf, s1
	s_fmamk_f32 s1, s0, 0x3f317217, s1
	s_delay_alu instid0(SALU_CYCLE_3) | instskip(NEXT) | instid1(SALU_CYCLE_1)
	s_cselect_b32 s0, s1, s0
	s_sub_f32 s0, s0, s2
	v_nop
	s_delay_alu instid0(SALU_CYCLE_2) | instskip(SKIP_2) | instid1(SALU_CYCLE_3)
	v_mul_f32_e64 v2, -s0, v2
	global_load_b32 v1, v1, s[4:5] scale_offset
	s_cvt_f32_i32 s0, s8
	v_div_scale_f32 v3, null, s0, s0, v2
	s_delay_alu instid0(VALU_DEP_1) | instskip(SKIP_1) | instid1(TRANS32_DEP_1)
	v_rcp_f32_e32 v4, v3
	v_nop
	v_fma_f32 v5, -v3, v4, 1.0
	s_delay_alu instid0(VALU_DEP_1) | instskip(SKIP_1) | instid1(VALU_DEP_1)
	v_fmac_f32_e32 v4, v5, v4
	v_div_scale_f32 v5, vcc_lo, v2, s0, v2
	v_mul_f32_e32 v6, v5, v4
	s_delay_alu instid0(VALU_DEP_1) | instskip(NEXT) | instid1(VALU_DEP_1)
	v_fma_f32 v7, -v3, v6, v5
	v_fmac_f32_e32 v6, v7, v4
	s_delay_alu instid0(VALU_DEP_1) | instskip(NEXT) | instid1(VALU_DEP_1)
	v_fma_f32 v3, -v3, v6, v5
	v_div_fmas_f32 v3, v3, v4, v6
                                        ; implicit-def: $vgpr6
	s_delay_alu instid0(VALU_DEP_1) | instskip(NEXT) | instid1(VALU_DEP_1)
	v_div_fixup_f32 v2, v3, s0, v2
	v_mul_f32_e32 v3, 0x3fb8aa3b, v2
	v_cmp_ngt_f32_e32 vcc_lo, 0xc2ce8ed0, v2
	s_delay_alu instid0(VALU_DEP_2) | instskip(SKIP_1) | instid1(VALU_DEP_1)
	v_fma_f32 v4, 0x3fb8aa3b, v2, -v3
	v_rndne_f32_e32 v5, v3
	v_dual_fmamk_f32 v4, v2, 0x32a5705f, v4 :: v_dual_sub_f32 v3, v3, v5
	s_delay_alu instid0(VALU_DEP_1) | instskip(SKIP_1) | instid1(VALU_DEP_2)
	v_add_f32_e32 v3, v3, v4
	v_cvt_i32_f32_e32 v4, v5
	v_exp_f32_e32 v3, v3
	v_nop
	s_delay_alu instid0(TRANS32_DEP_1) | instskip(NEXT) | instid1(VALU_DEP_1)
	v_ldexp_f32 v3, v3, v4
	v_cndmask_b32_e32 v3, 0, v3, vcc_lo
	v_cmp_nlt_f32_e32 vcc_lo, 0x42b17218, v2
	s_delay_alu instid0(VALU_DEP_2) | instskip(SKIP_1) | instid1(VALU_DEP_1)
	v_cndmask_b32_e32 v2, 0x7f800000, v3, vcc_lo
	s_wait_loadcnt 0x0
	v_mul_f32_e32 v2, v2, v1
                                        ; implicit-def: $vgpr1
	s_delay_alu instid0(VALU_DEP_1) | instskip(SKIP_1) | instid1(VALU_DEP_2)
	v_and_b32_e32 v3, 0x7fffffff, v2
	v_cmp_ngt_f32_e64 s2, 0x48000000, |v2|
	v_lshrrev_b32_e32 v4, 23, v3
	s_wait_xcnt 0x0
	s_and_saveexec_b32 s0, s2
	s_delay_alu instid0(SALU_CYCLE_1)
	s_xor_b32 s3, exec_lo, s0
	s_cbranch_execz .LBB0_6
; %bb.5:
	s_mov_b32 s0, 0x7fffff
	v_mov_b32_e32 v7, 0
	v_and_or_b32 v6, v3, s0, 0x800000
	s_mov_b64 s[0:1], 0xfe5163ab
	v_add_nc_u32_e32 v1, 0xffffff88, v4
	s_delay_alu instid0(VALU_DEP_2) | instskip(NEXT) | instid1(VALU_DEP_2)
	v_mul_u64_e32 v[8:9], s[0:1], v[6:7]
	v_cmp_lt_u32_e32 vcc_lo, 63, v1
	v_cndmask_b32_e64 v5, 0, 0xffffffc0, vcc_lo
	s_delay_alu instid0(VALU_DEP_3) | instskip(SKIP_2) | instid1(VALU_DEP_3)
	v_dual_mov_b32 v10, v9 :: v_dual_mov_b32 v11, v7
	v_dual_mov_b32 v13, v7 :: v_dual_mov_b32 v15, v7
	;; [unrolled: 1-line block ×3, first 2 shown]
	v_mad_nc_u64_u32 v[10:11], 0x3c439041, v6, v[10:11]
	v_dual_add_nc_u32 v1, v5, v1 :: v_dual_mov_b32 v21, v7
	s_delay_alu instid0(VALU_DEP_1) | instskip(NEXT) | instid1(VALU_DEP_3)
	v_cmp_lt_u32_e64 s0, 31, v1
	v_mov_b32_e32 v12, v11
	s_delay_alu instid0(VALU_DEP_2) | instskip(NEXT) | instid1(VALU_DEP_2)
	v_cndmask_b32_e64 v5, 0, 0xffffffe0, s0
	v_mad_nc_u64_u32 v[12:13], 0xdb629599, v6, v[12:13]
	s_delay_alu instid0(VALU_DEP_2) | instskip(NEXT) | instid1(VALU_DEP_1)
	v_add_nc_u32_e32 v1, v5, v1
	v_cmp_lt_u32_e64 s1, 31, v1
	s_delay_alu instid0(VALU_DEP_3) | instskip(NEXT) | instid1(VALU_DEP_2)
	v_mov_b32_e32 v14, v13
	v_cndmask_b32_e64 v5, 0, 0xffffffe0, s1
	v_cndmask_b32_e32 v8, v12, v8, vcc_lo
	s_delay_alu instid0(VALU_DEP_3) | instskip(NEXT) | instid1(VALU_DEP_1)
	v_mad_nc_u64_u32 v[14:15], 0xf534ddc0, v6, v[14:15]
	v_dual_add_nc_u32 v1, v5, v1 :: v_dual_cndmask_b32 v5, v14, v10, vcc_lo
	s_delay_alu instid0(VALU_DEP_2) | instskip(NEXT) | instid1(VALU_DEP_1)
	v_mov_b32_e32 v16, v15
	v_mad_nc_u64_u32 v[16:17], 0xfc2757d1, v6, v[16:17]
	s_delay_alu instid0(VALU_DEP_1) | instskip(NEXT) | instid1(VALU_DEP_1)
	v_dual_mov_b32 v18, v17 :: v_dual_cndmask_b32 v11, v16, v12
	v_mad_nc_u64_u32 v[18:19], 0x4e441529, v6, v[18:19]
	s_delay_alu instid0(VALU_DEP_1) | instskip(NEXT) | instid1(VALU_DEP_1)
	v_dual_mov_b32 v20, v19 :: v_dual_cndmask_b32 v9, v18, v14
	v_mad_nc_u64_u32 v[6:7], 0xa2f9836e, v6, v[20:21]
	s_delay_alu instid0(VALU_DEP_1) | instskip(SKIP_1) | instid1(VALU_DEP_2)
	v_dual_cndmask_b32 v6, v6, v16 :: v_dual_cndmask_b32 v7, v7, v18
	v_cmp_eq_u32_e32 vcc_lo, 0, v1
	v_dual_cndmask_b32 v10, v6, v9, s0 :: v_dual_cndmask_b32 v6, v7, v6, s0
	v_dual_cndmask_b32 v7, v9, v11, s0 :: v_dual_sub_nc_u32 v9, 32, v1
	s_delay_alu instid0(VALU_DEP_2) | instskip(NEXT) | instid1(VALU_DEP_2)
	v_dual_cndmask_b32 v11, v11, v5, s0 :: v_dual_cndmask_b32 v6, v6, v10, s1
	v_cndmask_b32_e64 v10, v10, v7, s1
	s_delay_alu instid0(VALU_DEP_1) | instskip(NEXT) | instid1(VALU_DEP_1)
	v_alignbit_b32 v13, v6, v10, v9
	v_dual_cndmask_b32 v7, v7, v11, s1 :: v_dual_cndmask_b32 v1, v13, v6, vcc_lo
	s_delay_alu instid0(VALU_DEP_1) | instskip(SKIP_1) | instid1(VALU_DEP_3)
	v_alignbit_b32 v12, v10, v7, v9
	v_cndmask_b32_e64 v5, v5, v8, s0
	v_bfe_u32 v8, v1, 29, 1
	s_delay_alu instid0(VALU_DEP_2) | instskip(NEXT) | instid1(VALU_DEP_2)
	v_dual_cndmask_b32 v6, v12, v10, vcc_lo :: v_dual_cndmask_b32 v5, v11, v5, s1
	v_sub_nc_u32_e32 v11, 0, v8
	s_delay_alu instid0(VALU_DEP_2) | instskip(NEXT) | instid1(VALU_DEP_3)
	v_alignbit_b32 v10, v1, v6, 30
	v_alignbit_b32 v9, v7, v5, v9
	s_delay_alu instid0(VALU_DEP_2) | instskip(NEXT) | instid1(VALU_DEP_2)
	v_xor_b32_e32 v10, v10, v11
	v_cndmask_b32_e32 v7, v9, v7, vcc_lo
	s_delay_alu instid0(VALU_DEP_2) | instskip(NEXT) | instid1(VALU_DEP_2)
	v_clz_i32_u32_e32 v9, v10
	v_alignbit_b32 v6, v6, v7, 30
	v_alignbit_b32 v5, v7, v5, 30
	s_delay_alu instid0(VALU_DEP_3) | instskip(NEXT) | instid1(VALU_DEP_3)
	v_min_u32_e32 v9, 32, v9
	v_xor_b32_e32 v6, v6, v11
	s_delay_alu instid0(VALU_DEP_3) | instskip(NEXT) | instid1(VALU_DEP_3)
	v_dual_lshrrev_b32 v11, 29, v1 :: v_dual_bitop2_b32 v5, v5, v11 bitop3:0x14
	v_dual_sub_nc_u32 v7, 31, v9 :: v_dual_lshlrev_b32 v12, 23, v9
	s_delay_alu instid0(VALU_DEP_1) | instskip(NEXT) | instid1(VALU_DEP_3)
	v_alignbit_b32 v10, v10, v6, v7
	v_alignbit_b32 v5, v6, v5, v7
	s_delay_alu instid0(VALU_DEP_4) | instskip(NEXT) | instid1(VALU_DEP_2)
	v_lshlrev_b32_e32 v6, 31, v11
	v_alignbit_b32 v7, v10, v5, 9
	s_delay_alu instid0(VALU_DEP_2) | instskip(SKIP_2) | instid1(VALU_DEP_4)
	v_or_b32_e32 v11, 0.5, v6
	v_or_b32_e32 v6, 0x33000000, v6
	v_lshrrev_b32_e32 v10, 9, v10
	v_clz_i32_u32_e32 v13, v7
	s_delay_alu instid0(VALU_DEP_4) | instskip(NEXT) | instid1(VALU_DEP_2)
	v_sub_nc_u32_e32 v11, v11, v12
	v_min_u32_e32 v12, 32, v13
	s_delay_alu instid0(VALU_DEP_2) | instskip(NEXT) | instid1(VALU_DEP_2)
	v_or_b32_e32 v10, v10, v11
	v_not_b32_e32 v11, v12
	v_add_lshl_u32 v9, v12, v9, 23
	s_delay_alu instid0(VALU_DEP_2) | instskip(NEXT) | instid1(VALU_DEP_2)
	v_alignbit_b32 v5, v7, v5, v11
	v_sub_nc_u32_e32 v6, v6, v9
	s_delay_alu instid0(VALU_DEP_2) | instskip(SKIP_1) | instid1(VALU_DEP_2)
	v_lshrrev_b32_e32 v5, 9, v5
	v_mul_f32_e32 v13, 0x3fc90fda, v10
	v_or_b32_e32 v5, v6, v5
	s_delay_alu instid0(VALU_DEP_2) | instskip(NEXT) | instid1(VALU_DEP_1)
	v_fma_f32 v7, 0x3fc90fda, v10, -v13
	v_fmamk_f32 v7, v10, 0x33a22168, v7
	s_delay_alu instid0(VALU_DEP_1) | instskip(SKIP_1) | instid1(VALU_DEP_1)
	v_fmac_f32_e32 v7, 0x3fc90fda, v5
	v_lshrrev_b32_e32 v5, 30, v1
	v_dual_add_f32 v1, v13, v7 :: v_dual_add_nc_u32 v6, v8, v5
.LBB0_6:
	s_or_saveexec_b32 s0, s3
	v_mul_f32_e64 v5, 0x3f22f983, |v2|
	s_xor_b32 exec_lo, exec_lo, s0
; %bb.7:
	s_delay_alu instid0(VALU_DEP_1) | instskip(NEXT) | instid1(VALU_DEP_1)
	v_rndne_f32_e32 v6, v5
	v_fma_f32 v1, 0xbfc90fda, v6, |v2|
	s_delay_alu instid0(VALU_DEP_1) | instskip(NEXT) | instid1(VALU_DEP_1)
	v_fmamk_f32 v1, v6, 0xb3a22168, v1
	v_fmamk_f32 v1, v6, 0xa7c234c4, v1
	v_cvt_i32_f32_e32 v6, v6
; %bb.8:
	s_or_b32 exec_lo, exec_lo, s0
	s_delay_alu instid0(VALU_DEP_1) | instskip(SKIP_3) | instid1(VALU_DEP_2)
	v_dual_mul_f32 v7, v1, v1 :: v_dual_bitop2_b32 v10, 1, v6 bitop3:0x40
	s_mov_b32 s0, 0xb94c1982
	s_mov_b32 s1, 0x37d75334
	v_lshlrev_b32_e32 v6, 30, v6
	v_fmaak_f32 v8, s0, v7, 0x3c0881c4
	v_cmp_eq_u32_e32 vcc_lo, 0, v10
	s_delay_alu instid0(VALU_DEP_2) | instskip(NEXT) | instid1(VALU_DEP_1)
	v_fmaak_f32 v8, v7, v8, 0xbe2aaa9d
	v_dual_fmaak_f32 v9, s1, v7, 0xbab64f3b :: v_dual_mul_f32 v8, v7, v8
	s_delay_alu instid0(VALU_DEP_1) | instskip(NEXT) | instid1(VALU_DEP_2)
	v_fmaak_f32 v9, v7, v9, 0x3d2aabf7
	v_fmac_f32_e32 v1, v1, v8
	s_delay_alu instid0(VALU_DEP_2) | instskip(NEXT) | instid1(VALU_DEP_1)
	v_fmaak_f32 v9, v7, v9, 0xbf000004
	v_fma_f32 v7, v7, v9, 1.0
	s_delay_alu instid0(VALU_DEP_1) | instskip(SKIP_1) | instid1(VALU_DEP_2)
	v_cndmask_b32_e64 v1, -v1, v7, vcc_lo
	v_cmp_class_f32_e64 vcc_lo, v2, 0x1f8
                                        ; implicit-def: $vgpr7
	v_bitop3_b32 v1, v6, v1, 0x80000000 bitop3:0x6c
	s_delay_alu instid0(VALU_DEP_1) | instskip(SKIP_3) | instid1(SALU_CYCLE_1)
	v_dual_cndmask_b32 v6, 0x7fc00000, v1 :: v_dual_ashrrev_i32 v1, 31, v0
	global_store_b32 v0, v6, s[6:7] scale_offset
                                        ; implicit-def: $vgpr6
	s_wait_xcnt 0x0
	s_and_saveexec_b32 s0, s2
	s_xor_b32 s3, exec_lo, s0
	s_cbranch_execz .LBB0_10
; %bb.9:
	s_mov_b32 s0, 0x7fffff
	v_mov_b32_e32 v7, 0
	v_and_or_b32 v6, v3, s0, 0x800000
	s_mov_b64 s[0:1], 0xfe5163ab
	s_delay_alu instid0(VALU_DEP_1) | instid1(SALU_CYCLE_1)
	v_mul_u64_e32 v[8:9], s[0:1], v[6:7]
	s_delay_alu instid0(VALU_DEP_1) | instskip(SKIP_2) | instid1(VALU_DEP_3)
	v_dual_mov_b32 v10, v9 :: v_dual_mov_b32 v11, v7
	v_dual_mov_b32 v13, v7 :: v_dual_mov_b32 v15, v7
	;; [unrolled: 1-line block ×3, first 2 shown]
	v_mad_nc_u64_u32 v[10:11], 0x3c439041, v6, v[10:11]
	v_add_nc_u32_e32 v9, 0xffffff88, v4
	s_delay_alu instid0(VALU_DEP_1) | instskip(NEXT) | instid1(VALU_DEP_3)
	v_cmp_lt_u32_e64 s0, 63, v9
	v_mov_b32_e32 v12, v11
	s_delay_alu instid0(VALU_DEP_2) | instskip(NEXT) | instid1(VALU_DEP_2)
	v_cndmask_b32_e64 v11, 0, 0xffffffc0, s0
	v_mad_nc_u64_u32 v[12:13], 0xdb629599, v6, v[12:13]
	s_delay_alu instid0(VALU_DEP_1) | instskip(NEXT) | instid1(VALU_DEP_1)
	v_dual_mov_b32 v14, v13 :: v_dual_cndmask_b32 v8, v12, v8, s0
	v_mad_nc_u64_u32 v[14:15], 0xf534ddc0, v6, v[14:15]
	s_delay_alu instid0(VALU_DEP_1) | instskip(NEXT) | instid1(VALU_DEP_1)
	v_mov_b32_e32 v16, v15
	v_mad_nc_u64_u32 v[16:17], 0xfc2757d1, v6, v[16:17]
	s_delay_alu instid0(VALU_DEP_1) | instskip(NEXT) | instid1(VALU_DEP_1)
	v_mov_b32_e32 v18, v17
	v_mad_nc_u64_u32 v[4:5], 0x4e441529, v6, v[18:19]
	s_delay_alu instid0(VALU_DEP_1) | instskip(NEXT) | instid1(VALU_DEP_1)
	v_dual_mov_b32 v18, v5 :: v_dual_add_nc_u32 v9, v11, v9
	v_cmp_lt_u32_e64 s1, 31, v9
	s_delay_alu instid0(VALU_DEP_3) | instskip(NEXT) | instid1(VALU_DEP_3)
	v_cndmask_b32_e64 v11, v4, v14, s0
	v_mad_nc_u64_u32 v[6:7], 0xa2f9836e, v6, v[18:19]
	s_delay_alu instid0(VALU_DEP_3) | instskip(NEXT) | instid1(VALU_DEP_1)
	v_cndmask_b32_e64 v5, 0, 0xffffffe0, s1
	v_add_nc_u32_e32 v5, v5, v9
	s_delay_alu instid0(VALU_DEP_1) | instskip(NEXT) | instid1(VALU_DEP_4)
	v_cmp_lt_u32_e64 s2, 31, v5
	v_cndmask_b32_e64 v4, v7, v4, s0
	s_delay_alu instid0(VALU_DEP_2) | instskip(NEXT) | instid1(VALU_DEP_1)
	v_cndmask_b32_e64 v9, 0, 0xffffffe0, s2
	v_dual_cndmask_b32 v6, v6, v16, s0 :: v_dual_add_nc_u32 v5, v9, v5
	v_dual_cndmask_b32 v7, v16, v12, s0 :: v_dual_cndmask_b32 v9, v14, v10, s0
	s_delay_alu instid0(VALU_DEP_2) | instskip(NEXT) | instid1(VALU_DEP_3)
	v_dual_cndmask_b32 v10, v6, v11, s1 :: v_dual_cndmask_b32 v4, v4, v6, s1
	v_cmp_eq_u32_e64 s0, 0, v5
	s_delay_alu instid0(VALU_DEP_3) | instskip(NEXT) | instid1(VALU_DEP_3)
	v_dual_cndmask_b32 v6, v11, v7, s1 :: v_dual_sub_nc_u32 v11, 32, v5
	v_dual_cndmask_b32 v7, v7, v9, s1 :: v_dual_cndmask_b32 v4, v4, v10, s2
	s_delay_alu instid0(VALU_DEP_2) | instskip(NEXT) | instid1(VALU_DEP_2)
	v_dual_cndmask_b32 v5, v9, v8, s1 :: v_dual_cndmask_b32 v10, v10, v6, s2
	v_cndmask_b32_e64 v6, v6, v7, s2
	s_delay_alu instid0(VALU_DEP_2) | instskip(NEXT) | instid1(VALU_DEP_2)
	v_alignbit_b32 v13, v4, v10, v11
	v_alignbit_b32 v12, v10, v6, v11
	s_delay_alu instid0(VALU_DEP_1) | instskip(NEXT) | instid1(VALU_DEP_1)
	v_dual_cndmask_b32 v4, v13, v4, s0 :: v_dual_cndmask_b32 v8, v12, v10, s0
	v_bfe_u32 v9, v4, 29, 1
	s_delay_alu instid0(VALU_DEP_1) | instskip(SKIP_1) | instid1(VALU_DEP_4)
	v_sub_nc_u32_e32 v10, 0, v9
	v_cndmask_b32_e64 v5, v7, v5, s2
	v_alignbit_b32 v7, v4, v8, 30
	s_delay_alu instid0(VALU_DEP_1) | instskip(NEXT) | instid1(VALU_DEP_3)
	v_xor_b32_e32 v7, v7, v10
	v_alignbit_b32 v11, v6, v5, v11
	s_delay_alu instid0(VALU_DEP_1) | instskip(NEXT) | instid1(VALU_DEP_3)
	v_cndmask_b32_e64 v6, v11, v6, s0
	v_clz_i32_u32_e32 v11, v7
	s_delay_alu instid0(VALU_DEP_2) | instskip(NEXT) | instid1(VALU_DEP_2)
	v_alignbit_b32 v8, v8, v6, 30
	v_min_u32_e32 v11, 32, v11
	v_alignbit_b32 v5, v6, v5, 30
	s_delay_alu instid0(VALU_DEP_2) | instskip(NEXT) | instid1(VALU_DEP_2)
	v_dual_sub_nc_u32 v8, 31, v11 :: v_dual_bitop2_b32 v6, v8, v10 bitop3:0x14
	v_dual_lshrrev_b32 v10, 29, v4 :: v_dual_bitop2_b32 v5, v5, v10 bitop3:0x14
	v_dual_lshlrev_b32 v12, 23, v11 :: v_dual_lshrrev_b32 v4, 30, v4
	s_delay_alu instid0(VALU_DEP_3) | instskip(NEXT) | instid1(VALU_DEP_3)
	v_alignbit_b32 v7, v7, v6, v8
	v_alignbit_b32 v5, v6, v5, v8
	s_delay_alu instid0(VALU_DEP_4) | instskip(NEXT) | instid1(VALU_DEP_2)
	v_lshlrev_b32_e32 v6, 31, v10
	v_alignbit_b32 v8, v7, v5, 9
	s_delay_alu instid0(VALU_DEP_2) | instskip(SKIP_1) | instid1(VALU_DEP_3)
	v_dual_lshrrev_b32 v7, 9, v7 :: v_dual_bitop2_b32 v10, 0.5, v6 bitop3:0x54
	v_or_b32_e32 v6, 0x33000000, v6
	v_clz_i32_u32_e32 v13, v8
	s_delay_alu instid0(VALU_DEP_3) | instskip(NEXT) | instid1(VALU_DEP_2)
	v_sub_nc_u32_e32 v10, v10, v12
	v_min_u32_e32 v12, 32, v13
	s_delay_alu instid0(VALU_DEP_1) | instskip(NEXT) | instid1(VALU_DEP_3)
	v_add_lshl_u32 v11, v12, v11, 23
	v_or_b32_e32 v7, v7, v10
	v_not_b32_e32 v10, v12
	s_delay_alu instid0(VALU_DEP_3) | instskip(NEXT) | instid1(VALU_DEP_3)
	v_sub_nc_u32_e32 v6, v6, v11
	v_mul_f32_e32 v13, 0x3fc90fda, v7
	s_delay_alu instid0(VALU_DEP_3) | instskip(NEXT) | instid1(VALU_DEP_2)
	v_alignbit_b32 v5, v8, v5, v10
	v_fma_f32 v8, 0x3fc90fda, v7, -v13
	s_delay_alu instid0(VALU_DEP_2) | instskip(NEXT) | instid1(VALU_DEP_2)
	v_lshrrev_b32_e32 v5, 9, v5
	v_fmamk_f32 v7, v7, 0x33a22168, v8
	s_delay_alu instid0(VALU_DEP_2) | instskip(NEXT) | instid1(VALU_DEP_1)
	v_or_b32_e32 v5, v6, v5
	v_fmac_f32_e32 v7, 0x3fc90fda, v5
                                        ; implicit-def: $vgpr5
	s_delay_alu instid0(VALU_DEP_1)
	v_add_f32_e32 v6, v13, v7
	v_add_nc_u32_e32 v7, v9, v4
.LBB0_10:
	s_or_saveexec_b32 s0, s3
	v_lshl_add_u64 v[0:1], v[0:1], 2, s[6:7]
	s_xor_b32 exec_lo, exec_lo, s0
; %bb.11:
	v_rndne_f32_e32 v4, v5
	s_delay_alu instid0(VALU_DEP_1) | instskip(SKIP_1) | instid1(VALU_DEP_2)
	v_fma_f32 v5, 0xbfc90fda, v4, |v2|
	v_cvt_i32_f32_e32 v7, v4
	v_fmamk_f32 v5, v4, 0xb3a22168, v5
	s_delay_alu instid0(VALU_DEP_1)
	v_fmamk_f32 v6, v4, 0xa7c234c4, v5
; %bb.12:
	s_or_b32 exec_lo, exec_lo, s0
	s_delay_alu instid0(VALU_DEP_1) | instskip(SKIP_3) | instid1(VALU_DEP_1)
	v_dual_mul_f32 v4, v6, v6 :: v_dual_bitop2_b32 v9, 1, v7 bitop3:0x40
	s_mov_b32 s0, 0xb94c1982
	s_mov_b32 s1, 0x37d75334
	s_ashr_i32 s9, s8, 31
	v_fmaak_f32 v5, s0, v4, 0x3c0881c4
	v_cmp_eq_u32_e64 s0, 0, v9
	v_lshl_add_u64 v[0:1], s[8:9], 2, v[0:1]
	v_dual_lshlrev_b32 v7, 30, v7 :: v_dual_bitop2_b32 v2, v3, v2 bitop3:0x14
	s_delay_alu instid0(VALU_DEP_4) | instskip(SKIP_1) | instid1(VALU_DEP_3)
	v_fmaak_f32 v5, v4, v5, 0xbe2aaa9d
	v_fmaak_f32 v8, s1, v4, 0xbab64f3b
	v_and_b32_e32 v3, 0x80000000, v7
	s_delay_alu instid0(VALU_DEP_2) | instskip(NEXT) | instid1(VALU_DEP_1)
	v_dual_mul_f32 v5, v4, v5 :: v_dual_fmaak_f32 v8, v4, v8, 0x3d2aabf7
	v_fmac_f32_e32 v6, v6, v5
	s_delay_alu instid0(VALU_DEP_2) | instskip(NEXT) | instid1(VALU_DEP_1)
	v_fmaak_f32 v8, v4, v8, 0xbf000004
	v_fma_f32 v4, v4, v8, 1.0
	s_delay_alu instid0(VALU_DEP_1) | instskip(NEXT) | instid1(VALU_DEP_1)
	v_cndmask_b32_e64 v4, v4, v6, s0
	v_xor3_b32 v2, v2, v3, v4
	s_delay_alu instid0(VALU_DEP_1)
	v_cndmask_b32_e32 v2, 0x7fc00000, v2, vcc_lo
	global_store_b32 v[0:1], v2, off
	s_endpgm
	.section	.rodata,"a",@progbits
	.p2align	6, 0x0
	.amdhsa_kernel _ZL22timestep_embedding_f32PKfPfiii
		.amdhsa_group_segment_fixed_size 0
		.amdhsa_private_segment_fixed_size 0
		.amdhsa_kernarg_size 288
		.amdhsa_user_sgpr_count 2
		.amdhsa_user_sgpr_dispatch_ptr 0
		.amdhsa_user_sgpr_queue_ptr 0
		.amdhsa_user_sgpr_kernarg_segment_ptr 1
		.amdhsa_user_sgpr_dispatch_id 0
		.amdhsa_user_sgpr_kernarg_preload_length 0
		.amdhsa_user_sgpr_kernarg_preload_offset 0
		.amdhsa_user_sgpr_private_segment_size 0
		.amdhsa_wavefront_size32 1
		.amdhsa_uses_dynamic_stack 0
		.amdhsa_enable_private_segment 0
		.amdhsa_system_sgpr_workgroup_id_x 1
		.amdhsa_system_sgpr_workgroup_id_y 1
		.amdhsa_system_sgpr_workgroup_id_z 0
		.amdhsa_system_sgpr_workgroup_info 0
		.amdhsa_system_vgpr_workitem_id 0
		.amdhsa_next_free_vgpr 22
		.amdhsa_next_free_sgpr 13
		.amdhsa_named_barrier_count 0
		.amdhsa_reserve_vcc 1
		.amdhsa_float_round_mode_32 0
		.amdhsa_float_round_mode_16_64 0
		.amdhsa_float_denorm_mode_32 3
		.amdhsa_float_denorm_mode_16_64 3
		.amdhsa_fp16_overflow 0
		.amdhsa_memory_ordered 1
		.amdhsa_forward_progress 1
		.amdhsa_inst_pref_size 21
		.amdhsa_round_robin_scheduling 0
		.amdhsa_exception_fp_ieee_invalid_op 0
		.amdhsa_exception_fp_denorm_src 0
		.amdhsa_exception_fp_ieee_div_zero 0
		.amdhsa_exception_fp_ieee_overflow 0
		.amdhsa_exception_fp_ieee_underflow 0
		.amdhsa_exception_fp_ieee_inexact 0
		.amdhsa_exception_int_div_zero 0
	.end_amdhsa_kernel
	.section	.text._ZL22timestep_embedding_f32PKfPfiii,"axG",@progbits,_ZL22timestep_embedding_f32PKfPfiii,comdat
.Lfunc_end0:
	.size	_ZL22timestep_embedding_f32PKfPfiii, .Lfunc_end0-_ZL22timestep_embedding_f32PKfPfiii
                                        ; -- End function
	.set _ZL22timestep_embedding_f32PKfPfiii.num_vgpr, 22
	.set _ZL22timestep_embedding_f32PKfPfiii.num_agpr, 0
	.set _ZL22timestep_embedding_f32PKfPfiii.numbered_sgpr, 13
	.set _ZL22timestep_embedding_f32PKfPfiii.num_named_barrier, 0
	.set _ZL22timestep_embedding_f32PKfPfiii.private_seg_size, 0
	.set _ZL22timestep_embedding_f32PKfPfiii.uses_vcc, 1
	.set _ZL22timestep_embedding_f32PKfPfiii.uses_flat_scratch, 0
	.set _ZL22timestep_embedding_f32PKfPfiii.has_dyn_sized_stack, 0
	.set _ZL22timestep_embedding_f32PKfPfiii.has_recursion, 0
	.set _ZL22timestep_embedding_f32PKfPfiii.has_indirect_call, 0
	.section	.AMDGPU.csdata,"",@progbits
; Kernel info:
; codeLenInByte = 2640
; TotalNumSgprs: 15
; NumVgprs: 22
; ScratchSize: 0
; MemoryBound: 0
; FloatMode: 240
; IeeeMode: 1
; LDSByteSize: 0 bytes/workgroup (compile time only)
; SGPRBlocks: 0
; VGPRBlocks: 1
; NumSGPRsForWavesPerEU: 15
; NumVGPRsForWavesPerEU: 22
; NamedBarCnt: 0
; Occupancy: 16
; WaveLimiterHint : 0
; COMPUTE_PGM_RSRC2:SCRATCH_EN: 0
; COMPUTE_PGM_RSRC2:USER_SGPR: 2
; COMPUTE_PGM_RSRC2:TRAP_HANDLER: 0
; COMPUTE_PGM_RSRC2:TGID_X_EN: 1
; COMPUTE_PGM_RSRC2:TGID_Y_EN: 1
; COMPUTE_PGM_RSRC2:TGID_Z_EN: 0
; COMPUTE_PGM_RSRC2:TIDIG_COMP_CNT: 0
	.section	.AMDGPU.gpr_maximums,"",@progbits
	.set amdgpu.max_num_vgpr, 0
	.set amdgpu.max_num_agpr, 0
	.set amdgpu.max_num_sgpr, 0
	.section	.AMDGPU.csdata,"",@progbits
	.type	__hip_cuid_f2f5a886e1d38163,@object ; @__hip_cuid_f2f5a886e1d38163
	.section	.bss,"aw",@nobits
	.globl	__hip_cuid_f2f5a886e1d38163
__hip_cuid_f2f5a886e1d38163:
	.byte	0                               ; 0x0
	.size	__hip_cuid_f2f5a886e1d38163, 1

	.ident	"AMD clang version 22.0.0git (https://github.com/RadeonOpenCompute/llvm-project roc-7.2.4 26084 f58b06dce1f9c15707c5f808fd002e18c2accf7e)"
	.section	".note.GNU-stack","",@progbits
	.addrsig
	.addrsig_sym __hip_cuid_f2f5a886e1d38163
	.amdgpu_metadata
---
amdhsa.kernels:
  - .args:
      - .address_space:  global
        .offset:         0
        .size:           8
        .value_kind:     global_buffer
      - .address_space:  global
        .offset:         8
        .size:           8
        .value_kind:     global_buffer
      - .offset:         16
        .size:           4
        .value_kind:     by_value
      - .offset:         20
        .size:           4
        .value_kind:     by_value
      - .offset:         24
        .size:           4
        .value_kind:     by_value
      - .offset:         32
        .size:           4
        .value_kind:     hidden_block_count_x
      - .offset:         36
        .size:           4
        .value_kind:     hidden_block_count_y
      - .offset:         40
        .size:           4
        .value_kind:     hidden_block_count_z
      - .offset:         44
        .size:           2
        .value_kind:     hidden_group_size_x
      - .offset:         46
        .size:           2
        .value_kind:     hidden_group_size_y
      - .offset:         48
        .size:           2
        .value_kind:     hidden_group_size_z
      - .offset:         50
        .size:           2
        .value_kind:     hidden_remainder_x
      - .offset:         52
        .size:           2
        .value_kind:     hidden_remainder_y
      - .offset:         54
        .size:           2
        .value_kind:     hidden_remainder_z
      - .offset:         72
        .size:           8
        .value_kind:     hidden_global_offset_x
      - .offset:         80
        .size:           8
        .value_kind:     hidden_global_offset_y
      - .offset:         88
        .size:           8
        .value_kind:     hidden_global_offset_z
      - .offset:         96
        .size:           2
        .value_kind:     hidden_grid_dims
    .group_segment_fixed_size: 0
    .kernarg_segment_align: 8
    .kernarg_segment_size: 288
    .language:       OpenCL C
    .language_version:
      - 2
      - 0
    .max_flat_workgroup_size: 1024
    .name:           _ZL22timestep_embedding_f32PKfPfiii
    .private_segment_fixed_size: 0
    .sgpr_count:     15
    .sgpr_spill_count: 0
    .symbol:         _ZL22timestep_embedding_f32PKfPfiii.kd
    .uniform_work_group_size: 1
    .uses_dynamic_stack: false
    .vgpr_count:     22
    .vgpr_spill_count: 0
    .wavefront_size: 32
amdhsa.target:   amdgcn-amd-amdhsa--gfx1250
amdhsa.version:
  - 1
  - 2
...

	.end_amdgpu_metadata
